;; amdgpu-corpus repo=ROCm/rocFFT kind=compiled arch=gfx950 opt=O3
	.text
	.amdgcn_target "amdgcn-amd-amdhsa--gfx950"
	.amdhsa_code_object_version 6
	.protected	fft_rtc_back_len168_factors_2_6_7_2_wgs_140_tpt_14_dim2_sp_ip_CI_sbcc_twdbase8_2step_dirReg ; -- Begin function fft_rtc_back_len168_factors_2_6_7_2_wgs_140_tpt_14_dim2_sp_ip_CI_sbcc_twdbase8_2step_dirReg
	.globl	fft_rtc_back_len168_factors_2_6_7_2_wgs_140_tpt_14_dim2_sp_ip_CI_sbcc_twdbase8_2step_dirReg
	.p2align	8
	.type	fft_rtc_back_len168_factors_2_6_7_2_wgs_140_tpt_14_dim2_sp_ip_CI_sbcc_twdbase8_2step_dirReg,@function
fft_rtc_back_len168_factors_2_6_7_2_wgs_140_tpt_14_dim2_sp_ip_CI_sbcc_twdbase8_2step_dirReg: ; @fft_rtc_back_len168_factors_2_6_7_2_wgs_140_tpt_14_dim2_sp_ip_CI_sbcc_twdbase8_2step_dirReg
; %bb.0:
	s_load_dwordx4 s[4:7], s[0:1], 0x10
	s_mov_b32 s3, 0
	s_mov_b64 s[16:17], -1
	s_waitcnt lgkmcnt(0)
	s_load_dwordx2 s[14:15], s[4:5], 0x8
	s_load_dwordx2 s[10:11], s[0:1], 0x50
	;; [unrolled: 1-line block ×3, first 2 shown]
	s_waitcnt lgkmcnt(0)
	s_add_u32 s4, s14, -1
	s_addc_u32 s5, s15, -1
	s_add_u32 s12, 0, 0x99986000
	s_addc_u32 s13, 0, 0x59
	s_add_i32 s13, s13, 0x19999940
	s_mul_hi_u32 s21, s12, -10
	s_sub_i32 s21, s21, s12
	s_mul_i32 s22, s13, -10
	s_mul_i32 s18, s12, -10
	s_add_i32 s21, s21, s22
	s_mul_hi_u32 s19, s13, s18
	s_mul_i32 s20, s13, s18
	s_mul_i32 s23, s12, s21
	s_mul_hi_u32 s18, s12, s18
	s_mul_hi_u32 s22, s12, s21
	s_add_u32 s18, s18, s23
	s_addc_u32 s22, 0, s22
	s_add_u32 s18, s18, s20
	s_mul_hi_u32 s23, s13, s21
	s_addc_u32 s18, s22, s19
	s_addc_u32 s19, s23, 0
	s_mul_i32 s20, s13, s21
	s_add_u32 s18, s18, s20
	v_mov_b32_e32 v1, s18
	s_addc_u32 s19, 0, s19
	v_add_co_u32_e32 v1, vcc, s12, v1
	s_cmp_lg_u64 vcc, 0
	s_addc_u32 s12, s13, s19
	v_readfirstlane_b32 s19, v1
	s_mul_i32 s18, s4, s12
	s_mul_hi_u32 s20, s4, s19
	s_mul_hi_u32 s13, s4, s12
	s_add_u32 s18, s20, s18
	s_addc_u32 s13, 0, s13
	s_mul_hi_u32 s21, s5, s19
	s_mul_i32 s19, s5, s19
	s_add_u32 s18, s18, s19
	s_mul_hi_u32 s20, s5, s12
	s_addc_u32 s13, s13, s21
	s_addc_u32 s18, s20, 0
	s_mul_i32 s12, s5, s12
	s_add_u32 s12, s13, s12
	s_addc_u32 s13, 0, s18
	s_add_u32 s18, s12, 1
	s_addc_u32 s19, s13, 0
	s_add_u32 s20, s12, 2
	s_mul_i32 s22, s13, 10
	s_mul_hi_u32 s23, s12, 10
	s_addc_u32 s21, s13, 0
	s_add_i32 s23, s23, s22
	s_mul_i32 s22, s12, 10
	v_mov_b32_e32 v1, s22
	v_sub_co_u32_e32 v1, vcc, s4, v1
	s_cmp_lg_u64 vcc, 0
	s_subb_u32 s4, s5, s23
	v_subrev_co_u32_e32 v2, vcc, 10, v1
	s_cmp_lg_u64 vcc, 0
	s_subb_u32 s5, s4, 0
	v_readfirstlane_b32 s22, v2
	s_cmp_gt_u32 s22, 9
	s_cselect_b32 s22, -1, 0
	s_cmp_eq_u32 s5, 0
	s_cselect_b32 s5, s22, -1
	s_cmp_lg_u32 s5, 0
	s_cselect_b32 s5, s20, s18
	s_cselect_b32 s18, s21, s19
	v_readfirstlane_b32 s19, v1
	s_cmp_gt_u32 s19, 9
	s_cselect_b32 s19, -1, 0
	s_cmp_eq_u32 s4, 0
	s_cselect_b32 s4, s19, -1
	s_cmp_lg_u32 s4, 0
	s_cselect_b32 s4, s5, s12
	s_cselect_b32 s13, s18, s13
	s_add_u32 s4, s4, 1
	s_addc_u32 s5, s13, 0
	v_mov_b64_e32 v[2:3], s[4:5]
	v_cmp_lt_u64_e32 vcc, s[2:3], v[2:3]
	s_mov_b64 s[18:19], 0
	s_cbranch_vccnz .LBB0_2
; %bb.1:
	v_cvt_f32_u32_e32 v1, s4
	s_sub_i32 s3, 0, s4
	v_rcp_iflag_f32_e32 v1, v1
	s_nop 0
	v_mul_f32_e32 v1, 0x4f7ffffe, v1
	v_cvt_u32_f32_e32 v1, v1
	s_nop 0
	v_readfirstlane_b32 s12, v1
	s_mul_i32 s3, s3, s12
	s_mul_hi_u32 s3, s12, s3
	s_add_i32 s12, s12, s3
	s_mul_hi_u32 s3, s2, s12
	s_mul_i32 s13, s3, s4
	s_sub_i32 s13, s2, s13
	s_add_i32 s12, s3, 1
	s_sub_i32 s18, s13, s4
	s_cmp_ge_u32 s13, s4
	s_cselect_b32 s3, s12, s3
	s_cselect_b32 s13, s18, s13
	s_add_i32 s12, s3, 1
	s_cmp_ge_u32 s13, s4
	s_cselect_b32 s18, s12, s3
.LBB0_2:
	s_mul_i32 s3, s18, s5
	s_mul_hi_u32 s5, s18, s4
	s_add_i32 s5, s5, s3
	s_mul_i32 s3, s18, s4
	s_sub_u32 s2, s2, s3
	s_subb_u32 s3, 0, s5
	s_load_dwordx4 s[4:7], s[6:7], 0x8
	s_mul_i32 s19, s3, 10
	s_mul_hi_u32 s3, s2, 10
	s_mul_i32 s21, s2, 10
	s_add_i32 s20, s3, s19
	s_waitcnt lgkmcnt(0)
	s_mul_i32 s22, s21, s5
	s_mul_hi_u32 s23, s21, s4
	s_mul_i32 s3, s20, s4
	s_add_i32 s22, s23, s22
	s_mul_i32 s7, s7, s18
	s_mul_hi_u32 s23, s6, s18
	v_mul_u32_u24_e32 v1, 0x199a, v0
	s_add_i32 s22, s22, s3
	s_mul_i32 s3, s21, s4
	s_add_i32 s23, s23, s7
	s_mul_i32 s6, s6, s18
	v_lshrrev_b32_e32 v1, 16, v1
	s_add_u32 s6, s6, s3
	v_mul_lo_u16_e32 v2, 10, v1
	s_load_dwordx2 s[12:13], s[0:1], 0x0
	s_addc_u32 s7, s23, s22
	v_sub_u16_e32 v22, v0, v2
	v_mov_b32_e32 v23, 0
	v_mad_u64_u32 v[24:25], s[2:3], s2, 10, v[22:23]
	s_add_u32 s18, s21, 10
	v_add_u32_e32 v25, s19, v25
	s_addc_u32 s19, s20, 0
	v_mov_b64_e32 v[2:3], s[14:15]
	v_cmp_gt_u64_e32 vcc, s[18:19], v[2:3]
	v_cmp_le_u64_e64 s[2:3], s[18:19], v[2:3]
	s_cbranch_vccz .LBB0_8
; %bb.3:
	v_cmp_le_u64_e32 vcc, s[14:15], v[24:25]
                                        ; implicit-def: $vgpr38
                                        ; implicit-def: $vgpr37
                                        ; implicit-def: $vgpr34
                                        ; implicit-def: $vgpr36
                                        ; implicit-def: $vgpr35
	s_and_saveexec_b64 s[16:17], vcc
	s_xor_b64 s[16:17], exec, s[16:17]
; %bb.4:
	v_add_u32_e32 v38, 14, v1
	v_add_u32_e32 v37, 28, v1
	;; [unrolled: 1-line block ×5, first 2 shown]
; %bb.5:
	s_or_saveexec_b64 s[16:17], s[16:17]
                                        ; implicit-def: $vgpr7
                                        ; implicit-def: $vgpr3
                                        ; implicit-def: $vgpr9
                                        ; implicit-def: $vgpr5
                                        ; implicit-def: $vgpr15
                                        ; implicit-def: $vgpr11
                                        ; implicit-def: $vgpr17
                                        ; implicit-def: $vgpr13
                                        ; implicit-def: $vgpr27
                                        ; implicit-def: $vgpr19
                                        ; implicit-def: $vgpr29
                                        ; implicit-def: $vgpr21
	s_xor_b64 exec, exec, s[16:17]
	s_cbranch_execz .LBB0_7
; %bb.6:
	v_mad_u64_u32 v[2:3], s[18:19], s4, v22, 0
	v_mov_b32_e32 v4, v3
	v_mad_u64_u32 v[4:5], s[18:19], s5, v22, v[4:5]
	v_mov_b32_e32 v3, v4
	;; [unrolled: 2-line block ×3, first 2 shown]
	v_mad_u64_u32 v[6:7], s[18:19], s9, v1, v[6:7]
	s_lshl_b64 s[18:19], s[6:7], 3
	s_add_u32 s18, s10, s18
	s_addc_u32 s19, s11, s19
	v_mov_b32_e32 v5, v6
	v_lshl_add_u64 v[18:19], v[2:3], 3, s[18:19]
	v_lshl_add_u64 v[10:11], v[4:5], 3, v[18:19]
	v_add_u32_e32 v5, 0x54, v1
	v_mad_u64_u32 v[2:3], s[18:19], s8, v5, 0
	v_mov_b32_e32 v4, v3
	v_mad_u64_u32 v[4:5], s[18:19], s9, v5, v[4:5]
	v_mov_b32_e32 v3, v4
	v_add_u32_e32 v38, 14, v1
	v_lshl_add_u64 v[12:13], v[2:3], 3, v[18:19]
	v_mad_u64_u32 v[2:3], s[18:19], s8, v38, 0
	v_mov_b32_e32 v4, v3
	v_mad_u64_u32 v[4:5], s[18:19], s9, v38, v[4:5]
	v_mov_b32_e32 v3, v4
	v_add_u32_e32 v5, 0x62, v1
	v_lshl_add_u64 v[14:15], v[2:3], 3, v[18:19]
	;; [unrolled: 6-line block ×3, first 2 shown]
	global_load_dwordx2 v[2:3], v[10:11], off
	global_load_dwordx2 v[6:7], v[12:13], off
	;; [unrolled: 1-line block ×4, first 2 shown]
	v_mad_u64_u32 v[10:11], s[18:19], s8, v37, 0
	v_mov_b32_e32 v12, v11
	v_mad_u64_u32 v[12:13], s[18:19], s9, v37, v[12:13]
	v_mov_b32_e32 v11, v12
	v_add_u32_e32 v13, 0x70, v1
	v_lshl_add_u64 v[20:21], v[10:11], 3, v[18:19]
	v_mad_u64_u32 v[10:11], s[18:19], s8, v13, 0
	v_mov_b32_e32 v12, v11
	v_mad_u64_u32 v[12:13], s[18:19], s9, v13, v[12:13]
	v_mov_b32_e32 v11, v12
	v_add_u32_e32 v34, 42, v1
	v_lshl_add_u64 v[26:27], v[10:11], 3, v[18:19]
	;; [unrolled: 6-line block ×4, first 2 shown]
	global_load_dwordx2 v[10:11], v[20:21], off
	global_load_dwordx2 v[14:15], v[26:27], off
	;; [unrolled: 1-line block ×4, first 2 shown]
	v_mad_u64_u32 v[20:21], s[18:19], s8, v36, 0
	v_mov_b32_e32 v26, v21
	v_mad_u64_u32 v[26:27], s[18:19], s9, v36, v[26:27]
	v_mov_b32_e32 v21, v26
	v_add_u32_e32 v23, 0x8c, v1
	v_lshl_add_u64 v[30:31], v[20:21], 3, v[18:19]
	v_mad_u64_u32 v[20:21], s[18:19], s8, v23, 0
	v_mov_b32_e32 v26, v21
	v_mad_u64_u32 v[26:27], s[18:19], s9, v23, v[26:27]
	v_mov_b32_e32 v21, v26
	v_add_u32_e32 v35, 0x46, v1
	v_lshl_add_u64 v[32:33], v[20:21], 3, v[18:19]
	;; [unrolled: 6-line block ×3, first 2 shown]
	v_mad_u64_u32 v[20:21], s[18:19], s8, v23, 0
	v_mov_b32_e32 v26, v21
	v_mad_u64_u32 v[26:27], s[18:19], s9, v23, v[26:27]
	v_mov_b32_e32 v21, v26
	v_lshl_add_u64 v[42:43], v[20:21], 3, v[18:19]
	global_load_dwordx2 v[18:19], v[30:31], off
	global_load_dwordx2 v[26:27], v[32:33], off
	;; [unrolled: 1-line block ×4, first 2 shown]
.LBB0_7:
	s_or_b64 exec, exec, s[16:17]
	s_cbranch_execz .LBB0_9
	s_branch .LBB0_10
.LBB0_8:
                                        ; implicit-def: $vgpr7
                                        ; implicit-def: $vgpr3
                                        ; implicit-def: $vgpr9
                                        ; implicit-def: $vgpr5
                                        ; implicit-def: $vgpr15
                                        ; implicit-def: $vgpr11
                                        ; implicit-def: $vgpr17
                                        ; implicit-def: $vgpr13
                                        ; implicit-def: $vgpr27
                                        ; implicit-def: $vgpr19
                                        ; implicit-def: $vgpr29
                                        ; implicit-def: $vgpr21
                                        ; implicit-def: $vgpr38
                                        ; implicit-def: $vgpr37
                                        ; implicit-def: $vgpr34
                                        ; implicit-def: $vgpr36
                                        ; implicit-def: $vgpr35
	s_andn2_b64 vcc, exec, s[16:17]
	s_cbranch_vccnz .LBB0_10
.LBB0_9:
	s_waitcnt vmcnt(11)
	v_mad_u64_u32 v[2:3], s[16:17], s4, v22, 0
	s_waitcnt vmcnt(9)
	v_mov_b32_e32 v4, v3
	v_mad_u64_u32 v[4:5], s[16:17], s5, v22, v[4:5]
	v_mov_b32_e32 v3, v4
	v_mad_u64_u32 v[4:5], s[16:17], s8, v1, 0
	;; [unrolled: 2-line block ×3, first 2 shown]
	s_lshl_b64 s[16:17], s[6:7], 3
	s_add_u32 s16, s10, s16
	s_addc_u32 s17, s11, s17
	v_mov_b32_e32 v5, v6
	s_waitcnt vmcnt(3)
	v_lshl_add_u64 v[18:19], v[2:3], 3, s[16:17]
	v_lshl_add_u64 v[10:11], v[4:5], 3, v[18:19]
	v_add_u32_e32 v5, 0x54, v1
	v_mad_u64_u32 v[2:3], s[16:17], s8, v5, 0
	v_mov_b32_e32 v4, v3
	v_mad_u64_u32 v[4:5], s[16:17], s9, v5, v[4:5]
	v_mov_b32_e32 v3, v4
	v_add_u32_e32 v38, 14, v1
	v_lshl_add_u64 v[12:13], v[2:3], 3, v[18:19]
	v_mad_u64_u32 v[2:3], s[16:17], s8, v38, 0
	v_mov_b32_e32 v4, v3
	v_mad_u64_u32 v[4:5], s[16:17], s9, v38, v[4:5]
	v_mov_b32_e32 v3, v4
	v_add_u32_e32 v5, 0x62, v1
	v_lshl_add_u64 v[14:15], v[2:3], 3, v[18:19]
	;; [unrolled: 6-line block ×3, first 2 shown]
	global_load_dwordx2 v[2:3], v[10:11], off
	global_load_dwordx2 v[6:7], v[12:13], off
	;; [unrolled: 1-line block ×4, first 2 shown]
	v_mad_u64_u32 v[10:11], s[16:17], s8, v37, 0
	v_mov_b32_e32 v12, v11
	v_mad_u64_u32 v[12:13], s[16:17], s9, v37, v[12:13]
	v_mov_b32_e32 v11, v12
	v_add_u32_e32 v13, 0x70, v1
	s_waitcnt vmcnt(5)
	v_lshl_add_u64 v[20:21], v[10:11], 3, v[18:19]
	v_mad_u64_u32 v[10:11], s[16:17], s8, v13, 0
	v_mov_b32_e32 v12, v11
	v_mad_u64_u32 v[12:13], s[16:17], s9, v13, v[12:13]
	v_mov_b32_e32 v11, v12
	v_add_u32_e32 v34, 42, v1
	v_lshl_add_u64 v[26:27], v[10:11], 3, v[18:19]
	v_mad_u64_u32 v[10:11], s[16:17], s8, v34, 0
	v_mov_b32_e32 v12, v11
	v_mad_u64_u32 v[12:13], s[16:17], s9, v34, v[12:13]
	v_mov_b32_e32 v11, v12
	v_add_u32_e32 v13, 0x7e, v1
	s_waitcnt vmcnt(4)
	v_lshl_add_u64 v[28:29], v[10:11], 3, v[18:19]
	v_mad_u64_u32 v[10:11], s[16:17], s8, v13, 0
	v_mov_b32_e32 v12, v11
	v_mad_u64_u32 v[12:13], s[16:17], s9, v13, v[12:13]
	v_mov_b32_e32 v11, v12
	v_add_u32_e32 v36, 56, v1
	v_lshl_add_u64 v[30:31], v[10:11], 3, v[18:19]
	global_load_dwordx2 v[10:11], v[20:21], off
	global_load_dwordx2 v[14:15], v[26:27], off
	;; [unrolled: 1-line block ×4, first 2 shown]
	v_mad_u64_u32 v[20:21], s[16:17], s8, v36, 0
	v_mov_b32_e32 v26, v21
	v_mad_u64_u32 v[26:27], s[16:17], s9, v36, v[26:27]
	v_mov_b32_e32 v21, v26
	v_add_u32_e32 v23, 0x8c, v1
	v_lshl_add_u64 v[30:31], v[20:21], 3, v[18:19]
	v_mad_u64_u32 v[20:21], s[16:17], s8, v23, 0
	v_mov_b32_e32 v26, v21
	v_mad_u64_u32 v[26:27], s[16:17], s9, v23, v[26:27]
	v_mov_b32_e32 v21, v26
	v_add_u32_e32 v35, 0x46, v1
	v_lshl_add_u64 v[32:33], v[20:21], 3, v[18:19]
	;; [unrolled: 6-line block ×3, first 2 shown]
	v_mad_u64_u32 v[20:21], s[16:17], s8, v23, 0
	v_mov_b32_e32 v26, v21
	v_mad_u64_u32 v[26:27], s[16:17], s9, v23, v[26:27]
	v_mov_b32_e32 v21, v26
	v_lshl_add_u64 v[42:43], v[20:21], 3, v[18:19]
	global_load_dwordx2 v[18:19], v[30:31], off
	global_load_dwordx2 v[26:27], v[32:33], off
	;; [unrolled: 1-line block ×4, first 2 shown]
.LBB0_10:
	s_waitcnt vmcnt(10)
	v_pk_add_f32 v[6:7], v[2:3], v[6:7] neg_lo:[0,1] neg_hi:[0,1]
	v_mul_u32_u24_e32 v23, 0xa0, v1
	v_lshlrev_b32_e32 v39, 3, v22
	v_add3_u32 v23, 0, v23, v39
	v_pk_fma_f32 v[2:3], v[2:3], 2.0, v[6:7] op_sel_hi:[1,0,1] neg_lo:[0,0,1] neg_hi:[0,0,1]
	s_waitcnt vmcnt(8)
	v_pk_add_f32 v[8:9], v[4:5], v[8:9] neg_lo:[0,1] neg_hi:[0,1]
	ds_write2_b64 v23, v[2:3], v[6:7] offset1:10
	v_mul_i32_i24_e32 v2, 0xa0, v38
	v_add3_u32 v6, 0, v2, v39
	v_pk_fma_f32 v[2:3], v[4:5], 2.0, v[8:9] op_sel_hi:[1,0,1] neg_lo:[0,0,1] neg_hi:[0,0,1]
	s_waitcnt vmcnt(6)
	v_pk_add_f32 v[14:15], v[10:11], v[14:15] neg_lo:[0,1] neg_hi:[0,1]
	ds_write2_b64 v6, v[2:3], v[8:9] offset1:10
	v_mul_i32_i24_e32 v2, 0xa0, v37
	;; [unrolled: 6-line block ×5, first 2 shown]
	v_add3_u32 v4, 0, v2, v39
	v_pk_fma_f32 v[2:3], v[20:21], 2.0, v[28:29] op_sel_hi:[1,0,1] neg_lo:[0,0,1] neg_hi:[0,0,1]
	v_and_b32_e32 v66, 1, v1
	ds_write2_b64 v4, v[2:3], v[28:29] offset1:10
	v_mul_u32_u24_e32 v2, 5, v66
	v_lshlrev_b32_e32 v12, 3, v2
	s_waitcnt lgkmcnt(0)
	s_barrier
	global_load_dwordx4 v[6:9], v12, s[12:13]
	global_load_dwordx4 v[2:5], v12, s[12:13] offset:16
	global_load_dwordx2 v[10:11], v12, s[12:13] offset:32
	s_movk_i32 s20, 0xffb0
	v_mad_i32_i24 v40, v1, s20, v23
	v_mad_i32_i24 v23, v37, s20, v30
	v_add_u32_e32 v12, 0x1400, v40
	v_add_u32_e32 v16, 0x1c00, v40
	;; [unrolled: 1-line block ×3, first 2 shown]
	ds_read_b64 v[30:31], v23
	ds_read_b64 v[32:33], v40 offset:12320
	ds_read_b64 v[42:43], v40 offset:3360
	ds_read_b64 v[44:45], v40
	ds_read2_b64 v[12:15], v12 offset0:60 offset1:200
	ds_read2_b64 v[16:19], v16 offset0:84 offset1:224
	;; [unrolled: 1-line block ×3, first 2 shown]
	v_mov_b32_e32 v21, 0x3f5db3d7
	s_mov_b32 s16, 0.5
	s_mov_b32 s17, 0x3f5db3d7
	s_mov_b32 s18, s17
	;; [unrolled: 1-line block ×3, first 2 shown]
	v_mad_i32_i24 v41, v36, s20, v41
	s_mov_b32 s20, -0.5
	s_mov_b32 s21, s17
	s_mov_b32 s22, s17
	s_waitcnt vmcnt(2)
	v_mov_b32_e32 v20, v7
	s_waitcnt vmcnt(1)
	v_mov_b32_e32 v50, v3
	s_waitcnt vmcnt(0)
	v_mov_b32_e32 v54, v11
	s_waitcnt lgkmcnt(1)
	v_pk_mul_f32 v[50:51], v[16:17], v[50:51] op_sel:[1,0] op_sel_hi:[0,1]
	v_pk_mul_f32 v[54:55], v[32:33], v[54:55] op_sel:[1,0] op_sel_hi:[0,1]
	v_pk_mul_f32 v[46:47], v[42:43], v[6:7]
	v_pk_mul_f32 v[48:49], v[42:43], v[6:7] op_sel:[1,0] op_sel_hi:[0,1]
	v_pk_mul_f32 v[52:53], v[16:17], v[2:3] op_sel:[1,0] op_sel_hi:[0,1]
	;; [unrolled: 1-line block ×4, first 2 shown]
	v_pk_fma_f32 v[16:17], v[16:17], v[2:3], v[50:51]
	v_pk_fma_f32 v[32:33], v[32:33], v[10:11], v[54:55]
	v_pk_mul_f32 v[56:57], v[4:5], v[18:19] op_sel:[0,1]
	v_mov_b32_e32 v60, v9
	v_mov_b32_e32 v47, v16
	;; [unrolled: 1-line block ×3, first 2 shown]
	v_pk_fma_f32 v[62:63], v[4:5], v[18:19], v[56:57] op_sel:[0,0,1] op_sel_hi:[1,1,0]
	v_pk_fma_f32 v[18:19], v[4:5], v[18:19], v[56:57] op_sel:[0,0,1] op_sel_hi:[1,0,0] neg_lo:[1,0,0] neg_hi:[1,0,0]
	v_mov_b32_e32 v56, v52
	v_mov_b32_e32 v57, v58
	;; [unrolled: 1-line block ×4, first 2 shown]
	v_pk_mul_f32 v[60:61], v[12:13], v[60:61] op_sel_hi:[1,0]
	v_mov_b32_e32 v49, v16
	v_mov_b32_e32 v53, v32
	v_pk_add_f32 v[46:47], v[46:47], v[42:43]
	v_pk_mul_f32 v[42:43], v[2:3], v[14:15] op_sel:[0,1]
	v_pk_add_f32 v[50:51], v[56:57], v[58:59] neg_lo:[0,1] neg_hi:[0,1]
	v_pk_fma_f32 v[54:55], v[12:13], v[8:9], v[60:61] op_sel:[0,0,1] op_sel_hi:[1,1,0]
	v_pk_fma_f32 v[12:13], v[12:13], v[8:9], v[60:61] op_sel:[0,0,1] op_sel_hi:[1,0,0] neg_lo:[0,0,1] neg_hi:[0,0,1]
	v_pk_add_f32 v[48:49], v[48:49], v[52:53] neg_lo:[0,1] neg_hi:[0,1]
	v_pk_fma_f32 v[52:53], v[2:3], v[14:15], v[42:43] op_sel:[0,0,1] op_sel_hi:[1,1,0]
	v_pk_fma_f32 v[14:15], v[2:3], v[14:15], v[42:43] op_sel:[0,0,1] op_sel_hi:[1,0,0] neg_lo:[1,0,0] neg_hi:[1,0,0]
	v_mov_b32_e32 v2, v5
	v_add_f32_e32 v12, v50, v51
	s_waitcnt lgkmcnt(0)
	v_pk_mul_f32 v[2:3], v[26:27], v[2:3] op_sel_hi:[1,0]
	v_mul_f32_e32 v20, 0.5, v12
	v_pk_fma_f32 v[56:57], v[26:27], v[4:5], v[2:3] op_sel:[0,0,1] op_sel_hi:[1,1,0]
	v_pk_fma_f32 v[2:3], v[26:27], v[4:5], v[2:3] op_sel:[0,0,1] op_sel_hi:[1,0,0] neg_lo:[0,0,1] neg_hi:[0,0,1]
	v_pk_mul_f32 v[4:5], v[48:49], s[16:17]
	v_pk_add_f32 v[20:21], v[48:49], v[20:21] neg_lo:[0,1] neg_hi:[0,1]
	v_mov_b32_e32 v2, v5
	v_fma_f32 v12, -0.5, v47, v46
	v_pk_add_f32 v[4:5], v[2:3], v[20:21]
	v_sub_f32_e32 v14, v50, v51
	v_pk_add_f32 v[20:21], v[20:21], v[2:3] neg_lo:[0,1] neg_hi:[0,1]
	v_pk_mul_f32 v[4:5], v[4:5], s[18:19] op_sel_hi:[0,1]
	v_fmamk_f32 v2, v14, 0xbf5db3d7, v12
	v_pk_fma_f32 v[58:59], v[2:3], s[16:17], v[4:5] neg_lo:[0,0,1] neg_hi:[0,0,1]
	v_pk_fma_f32 v[4:5], v[2:3], s[16:17], v[4:5] op_sel_hi:[0,1,1]
	v_mov_b32_e32 v59, v5
	v_pk_mul_f32 v[4:5], v[20:21], s[18:19] op_sel_hi:[0,1]
	ds_read_b64 v[20:21], v41
	v_mul_i32_i24_e32 v2, 0x50, v38
	v_fmac_f32_e32 v12, 0x3f5db3d7, v14
	v_add3_u32 v42, 0, v2, v39
	v_pk_fma_f32 v[60:61], v[12:13], s[20:21], v[4:5] op_sel_hi:[0,1,1] neg_lo:[0,0,1] neg_hi:[0,0,1]
	ds_read_b64 v[4:5], v42
	s_waitcnt lgkmcnt(1)
	v_pk_mul_f32 v[26:27], v[8:9], v[20:21] op_sel:[0,1]
	v_mov_b32_e32 v63, v19
	v_pk_fma_f32 v[64:65], v[8:9], v[20:21], v[26:27] op_sel:[0,0,1] op_sel_hi:[1,1,0]
	v_pk_fma_f32 v[8:9], v[8:9], v[20:21], v[26:27] op_sel:[0,0,1] op_sel_hi:[1,0,0] neg_lo:[1,0,0] neg_hi:[1,0,0]
	v_mov_b32_e32 v17, v16
	v_mov_b32_e32 v65, v9
	v_pk_add_f32 v[8:9], v[64:65], v[62:63]
	v_pk_add_f32 v[18:19], v[64:65], v[62:63] neg_lo:[0,1] neg_hi:[0,1]
	v_pk_fma_f32 v[8:9], v[8:9], 0.5, v[44:45] op_sel_hi:[1,0,1] neg_lo:[1,0,0] neg_hi:[1,0,0]
	v_pk_mul_f32 v[18:19], v[18:19], s[22:23] op_sel_hi:[1,0]
	v_mov_b32_e32 v16, v54
	v_pk_add_f32 v[20:21], v[8:9], v[18:19] op_sel:[0,1] op_sel_hi:[1,0] neg_lo:[0,1] neg_hi:[0,1]
	v_pk_add_f32 v[8:9], v[8:9], v[18:19] op_sel:[0,1] op_sel_hi:[1,0]
	v_mov_b32_e32 v19, v46
	s_waitcnt lgkmcnt(0)
	v_mov_b32_e32 v18, v4
	v_mov_b32_e32 v55, v13
	;; [unrolled: 1-line block ×3, first 2 shown]
	v_pk_add_f32 v[16:17], v[18:19], v[16:17]
	v_mov_b32_e32 v19, v32
	v_mov_b32_e32 v18, v56
	v_pk_add_f32 v[26:27], v[54:55], v[56:57]
	v_lshrrev_b32_e32 v2, 1, v1
	v_pk_add_f32 v[16:17], v[16:17], v[18:19]
	v_mov_b32_e32 v18, v5
	v_pk_fma_f32 v[4:5], v[26:27], 0.5, v[4:5] op_sel_hi:[1,0,1] neg_lo:[1,0,0] neg_hi:[1,0,0]
	v_mov_b32_e32 v27, v54
	v_mov_b32_e32 v26, v13
	;; [unrolled: 1-line block ×4, first 2 shown]
	v_mul_u32_u24_e32 v2, 12, v2
	v_mov_b32_e32 v19, v48
	v_pk_add_f32 v[26:27], v[26:27], v[32:33] neg_lo:[0,1] neg_hi:[0,1]
	s_movk_i32 s23, 0x50
	v_or_b32_e32 v2, v2, v66
	v_mov_b32_e32 v12, v13
	v_mov_b32_e32 v13, v50
	v_mul_u32_u24_e32 v2, 0x50, v2
	v_pk_add_f32 v[12:13], v[18:19], v[12:13]
	v_mov_b32_e32 v18, v20
	v_mov_b32_e32 v19, v9
	v_pk_fma_f32 v[32:33], v[26:27], s[22:23], v[4:5] op_sel_hi:[1,0,1] neg_lo:[1,0,0] neg_hi:[1,0,0]
	v_pk_fma_f32 v[46:47], v[26:27], s[22:23], v[4:5] op_sel_hi:[1,0,1]
	v_mov_b32_e32 v9, v21
	v_pk_mul_f32 v[20:21], v[6:7], v[30:31] op_sel:[0,1]
	v_mov_b32_e32 v53, v15
	v_pk_mul_f32 v[14:15], v[28:29], v[10:11] op_sel:[0,1]
	v_add3_u32 v43, 0, v2, v39
	v_mov_b32_e32 v50, v3
	v_mov_b32_e32 v2, v32
	;; [unrolled: 1-line block ×4, first 2 shown]
	v_pk_fma_f32 v[32:33], v[6:7], v[30:31], v[20:21] op_sel:[0,0,1] op_sel_hi:[1,0,0]
	v_pk_fma_f32 v[6:7], v[6:7], v[30:31], v[20:21] op_sel:[0,0,1] op_sel_hi:[1,0,0] neg_lo:[1,0,0] neg_hi:[1,0,0]
	v_pk_fma_f32 v[20:21], v[28:29], v[10:11], v[14:15] op_sel:[0,0,1] op_sel_hi:[1,1,0]
	v_pk_fma_f32 v[10:11], v[28:29], v[10:11], v[14:15] op_sel:[0,0,1] op_sel_hi:[1,0,0] neg_lo:[0,0,1] neg_hi:[0,0,1]
	v_mov_b32_e32 v33, v7
	v_mov_b32_e32 v21, v11
	v_pk_add_f32 v[10:11], v[52:53], v[20:21]
	v_mov_b32_e32 v6, v32
	v_pk_add_f32 v[14:15], v[52:53], v[20:21] neg_lo:[0,1] neg_hi:[0,1]
	v_pk_add_f32 v[28:29], v[32:33], v[52:53]
	v_fmac_f32_e32 v7, -0.5, v11
	v_fmac_f32_e32 v6, -0.5, v10
	v_pk_add_f32 v[20:21], v[28:29], v[20:21]
	v_fmamk_f32 v28, v14, 0x3f5db3d7, v7
	v_fmamk_f32 v10, v15, 0xbf5db3d7, v6
	v_pk_mul_f32 v[28:29], v[28:29], s[18:19] op_sel_hi:[0,1]
	v_fmac_f32_e32 v6, 0x3f5db3d7, v15
	v_fmac_f32_e32 v7, 0xbf5db3d7, v14
	v_pk_add_f32 v[14:15], v[44:45], v[64:65]
	v_pk_fma_f32 v[32:33], v[10:11], s[16:17], v[28:29] neg_lo:[0,0,1] neg_hi:[0,0,1]
	v_pk_fma_f32 v[10:11], v[10:11], s[16:17], v[28:29] op_sel_hi:[0,1,1]
	v_pk_add_f32 v[14:15], v[14:15], v[62:63]
	v_mov_b32_e32 v33, v11
	v_pk_add_f32 v[30:31], v[14:15], v[20:21]
	v_pk_add_f32 v[10:11], v[18:19], v[32:33]
	s_barrier
	ds_write2_b64 v43, v[30:31], v[10:11] offset1:20
	v_mov_b32_e32 v10, v7
	v_pk_mul_f32 v[10:11], v[10:11], s[18:19] op_sel_hi:[0,1]
	v_pk_fma_f32 v[6:7], v[6:7], s[20:21], v[10:11] op_sel_hi:[0,1,1] neg_lo:[0,0,1] neg_hi:[0,0,1]
	v_pk_add_f32 v[14:15], v[14:15], v[20:21] neg_lo:[0,1] neg_hi:[0,1]
	v_pk_add_f32 v[10:11], v[8:9], v[6:7]
	ds_write2_b64 v43, v[10:11], v[14:15] offset0:40 offset1:60
	v_pk_add_f32 v[10:11], v[18:19], v[32:33] neg_lo:[0,1] neg_hi:[0,1]
	v_pk_add_f32 v[6:7], v[8:9], v[6:7] neg_lo:[0,1] neg_hi:[0,1]
	ds_write2_b64 v43, v[10:11], v[6:7] offset0:80 offset1:100
	v_lshrrev_b32_e32 v6, 1, v38
	v_mul_lo_u32 v6, v6, 12
	v_or_b32_e32 v6, v6, v66
	v_pk_add_f32 v[12:13], v[12:13], v[50:51]
	v_mul_lo_u32 v6, v6, s23
	v_add3_u32 v10, 0, v6, v39
	v_mov_b32_e32 v6, v16
	v_mov_b32_e32 v7, v12
	;; [unrolled: 1-line block ×3, first 2 shown]
	v_pk_add_f32 v[26:27], v[2:3], v[58:59]
	v_pk_add_f32 v[8:9], v[6:7], v[12:13]
	;; [unrolled: 1-line block ×3, first 2 shown]
	v_pk_add_f32 v[28:29], v[6:7], v[12:13] neg_lo:[0,1] neg_hi:[0,1]
	v_add_u32_e32 v6, 0xf00, v40
	v_pk_add_f32 v[2:3], v[2:3], v[58:59] neg_lo:[0,1] neg_hi:[0,1]
	v_pk_add_f32 v[4:5], v[46:47], v[60:61] neg_lo:[0,1] neg_hi:[0,1]
	ds_write2_b64 v10, v[8:9], v[26:27] offset1:20
	ds_write2_b64 v10, v[30:31], v[28:29] offset0:40 offset1:60
	ds_write2_b64 v10, v[2:3], v[4:5] offset0:80 offset1:100
	s_waitcnt lgkmcnt(0)
	s_barrier
	ds_read2_b64 v[18:21], v6 offset1:240
	v_add_u32_e32 v6, 0x1e00, v40
	ds_read2_b64 v[10:13], v40 offset1:240
	ds_read2_b64 v[14:17], v6 offset1:240
	ds_read_b64 v[32:33], v40 offset:11520
	s_movk_i32 s16, 0x64
	v_cmp_gt_u32_e32 vcc, s16, v0
                                        ; implicit-def: $vgpr8
	s_and_saveexec_b64 s[16:17], vcc
	s_cbranch_execz .LBB0_12
; %bb.11:
	v_add_u32_e32 v2, 0x1000, v40
	ds_read_b64 v[26:27], v42
	ds_read_b64 v[30:31], v40 offset:3040
	ds_read2_b32 v[28:29], v2 offset0:216 offset1:217
	v_add_u32_e32 v2, 0x1a80, v40
	v_add_u32_e32 v6, 0x2980, v40
	ds_read2_b64 v[2:5], v2 offset0:12 offset1:252
	ds_read2_b64 v[6:9], v6 offset0:12 offset1:252
.LBB0_12:
	s_or_b64 exec, exec, s[16:17]
	v_mul_lo_u16_e32 v43, 22, v1
	v_lshrrev_b16_e32 v43, 8, v43
	v_mul_lo_u16_e32 v44, 12, v43
	v_sub_u16_e32 v44, v1, v44
	v_and_b32_e32 v61, 0xff, v44
	v_mul_u32_u24_e32 v44, 6, v61
	v_lshlrev_b32_e32 v56, 3, v44
	global_load_dwordx4 v[44:47], v56, s[12:13] offset:96
	global_load_dwordx4 v[48:51], v56, s[12:13] offset:80
	;; [unrolled: 1-line block ×3, first 2 shown]
	s_waitcnt lgkmcnt(3)
	v_mov_b32_e32 v56, v21
	v_mov_b32_e32 v57, v20
	s_movk_i32 s17, 0x54
	s_waitcnt lgkmcnt(1)
	v_mov_b32_e32 v58, v15
	v_mad_u32_u24 v15, v43, s17, v61
	v_mov_b32_e32 v59, v14
	v_mov_b32_e32 v60, v13
	;; [unrolled: 1-line block ×4, first 2 shown]
	s_waitcnt lgkmcnt(0)
	v_mov_b32_e32 v66, v33
	v_mul_u32_u24_e32 v15, 0x50, v15
	v_add3_u32 v43, 0, v15, v39
	s_mov_b32 s18, 0x3f08b237
	s_mov_b32 s26, 0x3d64c772
	s_mov_b32 s19, 0xbeae86e6
	s_mov_b32 s27, 0x3f4a47b2
	s_mov_b32 s20, s19
	s_mov_b32 s21, s18
	s_mov_b32 s28, 0xbf955555
	s_mov_b32 s30, s27
	s_mov_b32 s31, s26
	s_mov_b32 s16, 0xbee1c552
	s_barrier
	s_mov_b32 s22, 0xbf5ff5aa
	s_mov_b32 s24, 0x3f3bfb3b
	s_waitcnt vmcnt(2)
	v_pk_mul_f32 v[70:71], v[44:45], v[56:57]
	s_waitcnt vmcnt(1)
	v_pk_mul_f32 v[76:77], v[50:51], v[18:19] op_sel_hi:[1,0]
	v_mov_b32_e32 v68, v45
	v_mov_b32_e32 v70, v47
	v_pk_mul_f32 v[74:75], v[48:49], v[12:13] op_sel_hi:[1,0]
	s_waitcnt vmcnt(0)
	v_pk_mul_f32 v[78:79], v[52:53], v[16:17] op_sel_hi:[1,0]
	v_pk_mul_f32 v[80:81], v[54:55], v[32:33] op_sel_hi:[1,0]
	v_pk_fma_f32 v[18:19], v[50:51], v[18:19], v[76:77] op_sel:[0,1,1] op_sel_hi:[1,1,0]
	v_pk_mul_f32 v[20:21], v[44:45], v[20:21] op_sel_hi:[1,0]
	v_pk_mul_f32 v[14:15], v[46:47], v[14:15] op_sel_hi:[1,0]
	v_pk_mul_f32 v[72:73], v[46:47], v[58:59]
	v_pk_mul_f32 v[68:69], v[68:69], v[56:57]
	v_mov_b32_e32 v18, v71
	v_pk_mul_f32 v[70:71], v[70:71], v[58:59]
	v_pk_fma_f32 v[60:61], v[48:49], v[60:61], v[74:75] op_sel:[0,0,1] op_sel_hi:[1,1,0] neg_lo:[0,0,1] neg_hi:[0,0,1]
	v_pk_fma_f32 v[12:13], v[48:49], v[12:13], v[74:75] op_sel:[0,1,1] op_sel_hi:[1,1,0]
	v_pk_fma_f32 v[48:49], v[50:51], v[62:63], v[76:77] op_sel:[0,0,1] op_sel_hi:[1,1,0] neg_lo:[0,0,1] neg_hi:[0,0,1]
	v_pk_fma_f32 v[50:51], v[52:53], v[64:65], v[78:79] op_sel:[0,0,1] op_sel_hi:[1,1,0] neg_lo:[0,0,1] neg_hi:[0,0,1]
	v_pk_fma_f32 v[16:17], v[52:53], v[16:17], v[78:79] op_sel:[0,1,1] op_sel_hi:[1,1,0]
	v_pk_fma_f32 v[52:53], v[54:55], v[66:67], v[80:81] op_sel:[0,0,1] op_sel_hi:[1,1,0] neg_lo:[0,0,1] neg_hi:[0,0,1]
	v_pk_fma_f32 v[32:33], v[54:55], v[32:33], v[80:81] op_sel:[0,1,1] op_sel_hi:[1,1,0]
	v_mov_b32_e32 v72, v73
	v_mov_b32_e32 v61, v13
	;; [unrolled: 1-line block ×9, first 2 shown]
	v_pk_fma_f32 v[44:45], v[44:45], v[56:57], v[18:19] neg_lo:[0,0,1] neg_hi:[0,0,1]
	v_pk_fma_f32 v[46:47], v[46:47], v[58:59], v[72:73] neg_lo:[0,0,1] neg_hi:[0,0,1]
	v_pk_add_f32 v[12:13], v[60:61], v[52:53]
	v_pk_add_f32 v[18:19], v[48:49], v[50:51]
	;; [unrolled: 1-line block ×4, first 2 shown]
	v_pk_add_f32 v[32:33], v[48:49], v[50:51] neg_lo:[0,1] neg_hi:[0,1]
	v_mov_b32_e32 v49, v44
	v_mov_b32_e32 v51, v46
	;; [unrolled: 1-line block ×6, first 2 shown]
	v_pk_add_f32 v[16:17], v[60:61], v[52:53] neg_lo:[0,1] neg_hi:[0,1]
	v_pk_add_f32 v[60:61], v[20:21], v[14:15]
	v_pk_add_f32 v[44:45], v[46:47], v[44:45] neg_lo:[0,1] neg_hi:[0,1]
	v_pk_add_f32 v[46:47], v[48:49], v[50:51]
	v_mov_b32_e32 v53, v17
	v_mov_b32_e32 v54, v32
	;; [unrolled: 1-line block ×12, first 2 shown]
	v_pk_add_f32 v[48:49], v[52:53], v[54:55] neg_lo:[0,1] neg_hi:[0,1]
	v_pk_add_f32 v[52:53], v[14:15], v[62:63] neg_lo:[0,1] neg_hi:[0,1]
	v_mov_b32_e32 v65, v47
	v_mov_b32_e32 v20, v60
	v_pk_add_f32 v[46:47], v[46:47], v[60:61]
	v_pk_add_f32 v[44:45], v[44:45], v[32:33]
	v_pk_add_f32 v[50:51], v[56:57], v[58:59] neg_lo:[0,1] neg_hi:[0,1]
	v_pk_mul_f32 v[48:49], v[48:49], s[18:19]
	v_pk_add_f32 v[56:57], v[64:65], v[20:21] neg_lo:[0,1] neg_hi:[0,1]
	v_pk_add_f32 v[10:11], v[46:47], v[10:11]
	v_pk_mul_f32 v[52:53], v[52:53], s[26:27]
	v_pk_add_f32 v[44:45], v[44:45], v[16:17]
	v_pk_mul_f32 v[54:55], v[50:51], s[20:21]
	v_pk_mul_f32 v[58:59], v[56:57], s[30:31]
	v_pk_fma_f32 v[46:47], v[46:47], s[28:29], v[10:11] op_sel_hi:[1,0,1]
	v_pk_fma_f32 v[56:57], v[56:57], s[30:31], v[52:53]
	v_pk_fma_f32 v[50:51], v[50:51], s[20:21], v[48:49]
	v_pk_add_f32 v[56:57], v[56:57], v[46:47]
	v_pk_fma_f32 v[50:51], v[44:45], s[16:17], v[50:51] op_sel_hi:[1,0,1]
	v_mov_b32_e32 v20, v19
	v_pk_add_f32 v[60:61], v[56:57], v[50:51]
	v_pk_add_f32 v[50:51], v[56:57], v[50:51] neg_lo:[0,1] neg_hi:[0,1]
	v_mov_b32_e32 v56, v60
	v_mov_b32_e32 v57, v51
	;; [unrolled: 1-line block ×3, first 2 shown]
	ds_write2_b64 v43, v[10:11], v[56:57] offset1:120
	v_pk_add_f32 v[10:11], v[32:33], v[16:17] neg_lo:[0,1] neg_hi:[0,1]
	v_pk_add_f32 v[12:13], v[20:21], v[14:15] neg_lo:[0,1] neg_hi:[0,1]
	v_mov_b32_e32 v14, v58
	v_mov_b32_e32 v15, v53
	;; [unrolled: 1-line block ×6, first 2 shown]
	v_pk_fma_f32 v[14:15], v[12:13], s[24:25], v[14:15] op_sel_hi:[1,0,1] neg_lo:[1,0,1] neg_hi:[1,0,1]
	v_pk_fma_f32 v[16:17], v[10:11], s[22:23], v[16:17] op_sel_hi:[1,0,1] neg_lo:[1,0,1] neg_hi:[1,0,1]
	;; [unrolled: 1-line block ×4, first 2 shown]
	v_pk_add_f32 v[14:15], v[14:15], v[46:47]
	v_pk_fma_f32 v[16:17], v[44:45], s[16:17], v[16:17] op_sel_hi:[1,0,1]
	v_pk_add_f32 v[12:13], v[12:13], v[46:47]
	v_pk_fma_f32 v[10:11], v[44:45], s[16:17], v[10:11] op_sel_hi:[1,0,1]
	v_pk_add_f32 v[18:19], v[14:15], v[16:17]
	v_pk_add_f32 v[14:15], v[14:15], v[16:17] neg_lo:[0,1] neg_hi:[0,1]
	v_pk_add_f32 v[20:21], v[12:13], v[10:11] neg_lo:[0,1] neg_hi:[0,1]
	v_pk_add_f32 v[10:11], v[12:13], v[10:11]
	v_mov_b32_e32 v16, v18
	v_mov_b32_e32 v17, v15
	;; [unrolled: 1-line block ×4, first 2 shown]
	v_add_u32_e32 v11, 0x400, v43
	ds_write2_b64 v11, v[16:17], v[12:13] offset0:112 offset1:232
	v_mov_b32_e32 v11, v21
	v_mov_b32_e32 v15, v19
	v_add_u32_e32 v12, 0xc00, v43
	v_mov_b32_e32 v51, v61
	ds_write2_b64 v12, v[10:11], v[14:15] offset0:96 offset1:216
	ds_write_b64 v43, v[50:51] offset:5760
	s_and_saveexec_b64 s[34:35], vcc
	s_cbranch_execz .LBB0_14
; %bb.13:
	s_movk_i32 s17, 0xab
	v_mul_lo_u16_sdwa v10, v38, s17 dst_sel:DWORD dst_unused:UNUSED_PAD src0_sel:BYTE_0 src1_sel:DWORD
	v_lshrrev_b16_e32 v10, 11, v10
	v_mul_lo_u16_e32 v10, 12, v10
	v_sub_u16_e32 v33, v38, v10
	v_mov_b32_e32 v10, 6
	v_mul_u32_u24_sdwa v10, v33, v10 dst_sel:DWORD dst_unused:UNUSED_PAD src0_sel:BYTE_0 src1_sel:DWORD
	v_lshlrev_b32_e32 v32, 3, v10
	global_load_dwordx4 v[10:13], v32, s[12:13] offset:96
	global_load_dwordx4 v[14:17], v32, s[12:13] offset:80
	;; [unrolled: 1-line block ×3, first 2 shown]
	s_movk_i32 s17, 0x50
	v_mov_b32_e32 v32, v31
	v_mov_b32_e32 v44, v31
	;; [unrolled: 1-line block ×8, first 2 shown]
	v_mul_u32_u24_sdwa v33, v33, s17 dst_sel:DWORD dst_unused:UNUSED_PAD src0_sel:BYTE_0 src1_sel:DWORD
	v_add3_u32 v43, 0, v33, v39
	s_waitcnt vmcnt(2)
	v_mov_b32_e32 v58, v13
	v_mov_b32_e32 v59, v12
	s_waitcnt vmcnt(1)
	v_pk_mul_f32 v[30:31], v[30:31], v[14:15] op_sel_hi:[0,1]
	s_waitcnt vmcnt(0)
	v_pk_mul_f32 v[8:9], v[8:9], v[20:21] op_sel_hi:[0,1]
	v_pk_mul_f32 v[28:29], v[28:29], v[16:17] op_sel_hi:[0,1]
	;; [unrolled: 1-line block ×3, first 2 shown]
	v_pk_mul_f32 v[12:13], v[4:5], v[12:13]
	v_pk_mul_f32 v[60:61], v[2:3], v[10:11]
	v_pk_mul_f32 v[50:51], v[50:51], v[10:11] op_sel:[0,1] op_sel_hi:[1,0]
	v_pk_mul_f32 v[62:63], v[2:3], v[10:11] op_sel:[0,1] op_sel_hi:[1,0]
	v_pk_mul_f32 v[48:49], v[48:49], v[58:59]
	v_pk_mul_f32 v[64:65], v[4:5], v[58:59]
	v_pk_fma_f32 v[66:67], v[46:47], v[20:21], v[8:9] op_sel:[0,0,1] op_sel_hi:[0,1,0] neg_lo:[0,0,1] neg_hi:[0,0,1]
	v_pk_fma_f32 v[8:9], v[46:47], v[20:21], v[8:9] op_sel:[0,0,1] op_sel_hi:[0,1,0]
	v_pk_fma_f32 v[20:21], v[32:33], v[14:15], v[30:31] op_sel:[0,0,1] op_sel_hi:[1,1,0] neg_lo:[0,0,1] neg_hi:[0,0,1]
	v_pk_fma_f32 v[14:15], v[44:45], v[14:15], v[30:31] op_sel:[0,0,1] op_sel_hi:[0,1,0]
	;; [unrolled: 2-line block ×4, first 2 shown]
	v_mov_b32_e32 v62, v63
	v_mov_b32_e32 v6, v65
	;; [unrolled: 1-line block ×10, first 2 shown]
	v_pk_fma_f32 v[2:3], v[2:3], v[10:11], v[62:63] op_sel:[0,1,0] op_sel_hi:[1,0,1] neg_lo:[1,0,0] neg_hi:[1,0,0]
	v_pk_fma_f32 v[4:5], v[4:5], v[58:59], v[6:7] neg_lo:[1,0,0] neg_hi:[1,0,0]
	v_pk_add_f32 v[6:7], v[20:21], v[66:67]
	v_pk_add_f32 v[8:9], v[18:19], v[30:31]
	;; [unrolled: 1-line block ×4, first 2 shown]
	v_pk_add_f32 v[14:15], v[18:19], v[30:31] neg_lo:[0,1] neg_hi:[0,1]
	v_mov_b32_e32 v19, v2
	v_mov_b32_e32 v5, v12
	;; [unrolled: 1-line block ×6, first 2 shown]
	v_pk_add_f32 v[10:11], v[20:21], v[66:67] neg_lo:[0,1] neg_hi:[0,1]
	v_pk_add_f32 v[44:45], v[16:17], v[12:13]
	v_pk_add_f32 v[2:3], v[4:5], v[2:3] neg_lo:[0,1] neg_hi:[0,1]
	v_pk_add_f32 v[4:5], v[18:19], v[32:33]
	v_mov_b32_e32 v20, v10
	v_mov_b32_e32 v29, v15
	;; [unrolled: 1-line block ×4, first 2 shown]
	v_pk_add_f32 v[32:33], v[4:5], v[44:45]
	v_mov_b32_e32 v4, v7
	v_mov_b32_e32 v45, v17
	;; [unrolled: 1-line block ×3, first 2 shown]
	v_pk_add_f32 v[18:19], v[2:3], v[14:15]
	v_mov_b32_e32 v30, v2
	v_mov_b32_e32 v2, v14
	v_pk_add_f32 v[20:21], v[20:21], v[28:29] neg_lo:[0,1] neg_hi:[0,1]
	v_pk_add_f32 v[28:29], v[4:5], v[44:45] neg_lo:[0,1] neg_hi:[0,1]
	v_mov_b32_e32 v45, v13
	v_mov_b32_e32 v4, v9
	v_pk_add_f32 v[2:3], v[30:31], v[2:3] neg_lo:[0,1] neg_hi:[0,1]
	v_pk_add_f32 v[4:5], v[44:45], v[4:5] neg_lo:[0,1] neg_hi:[0,1]
	v_pk_add_f32 v[26:27], v[26:27], v[32:33]
	v_pk_mul_f32 v[2:3], v[2:3], s[18:19]
	v_pk_mul_f32 v[4:5], v[4:5], s[26:27]
	v_pk_add_f32 v[18:19], v[18:19], v[10:11]
	v_pk_mul_f32 v[30:31], v[20:21], s[20:21]
	v_pk_mul_f32 v[46:47], v[28:29], s[30:31]
	v_pk_fma_f32 v[32:33], v[32:33], s[28:29], v[26:27] op_sel_hi:[1,0,1]
	v_pk_fma_f32 v[20:21], v[20:21], s[20:21], v[2:3]
	v_pk_fma_f32 v[28:29], v[28:29], s[30:31], v[4:5]
	v_pk_fma_f32 v[20:21], v[18:19], s[16:17], v[20:21] op_sel_hi:[1,0,1]
	v_pk_add_f32 v[28:29], v[28:29], v[32:33]
	v_add_u32_e32 v6, 0x1800, v43
	v_pk_add_f32 v[44:45], v[28:29], v[20:21]
	v_pk_add_f32 v[20:21], v[28:29], v[20:21] neg_lo:[0,1] neg_hi:[0,1]
	v_mov_b32_e32 v28, v44
	v_mov_b32_e32 v29, v21
	;; [unrolled: 1-line block ×4, first 2 shown]
	ds_write2_b64 v6, v[26:27], v[28:29] offset0:72 offset1:192
	v_pk_add_f32 v[10:11], v[14:15], v[10:11] neg_lo:[0,1] neg_hi:[0,1]
	v_mov_b32_e32 v14, v30
	v_mov_b32_e32 v15, v3
	v_pk_add_f32 v[6:7], v[16:17], v[12:13] neg_lo:[0,1] neg_hi:[0,1]
	v_mov_b32_e32 v8, v46
	v_mov_b32_e32 v9, v5
	;; [unrolled: 1-line block ×4, first 2 shown]
	v_pk_fma_f32 v[14:15], v[10:11], s[22:23], v[14:15] op_sel_hi:[1,0,1] neg_lo:[1,0,1] neg_hi:[1,0,1]
	v_pk_fma_f32 v[8:9], v[6:7], s[24:25], v[8:9] op_sel_hi:[1,0,1] neg_lo:[1,0,1] neg_hi:[1,0,1]
	;; [unrolled: 1-line block ×4, first 2 shown]
	v_pk_fma_f32 v[14:15], v[18:19], s[16:17], v[14:15] op_sel_hi:[1,0,1]
	v_pk_add_f32 v[8:9], v[8:9], v[32:33]
	v_pk_fma_f32 v[2:3], v[18:19], s[16:17], v[2:3] op_sel_hi:[1,0,1]
	v_pk_add_f32 v[4:5], v[4:5], v[32:33]
	v_pk_add_f32 v[12:13], v[8:9], v[14:15]
	v_pk_add_f32 v[8:9], v[8:9], v[14:15] neg_lo:[0,1] neg_hi:[0,1]
	v_pk_add_f32 v[6:7], v[4:5], v[2:3] neg_lo:[0,1] neg_hi:[0,1]
	v_pk_add_f32 v[2:3], v[4:5], v[2:3]
	v_mov_b32_e32 v14, v12
	v_mov_b32_e32 v15, v9
	;; [unrolled: 1-line block ×4, first 2 shown]
	v_add_u32_e32 v3, 0x2000, v43
	ds_write2_b64 v3, v[14:15], v[4:5] offset0:56 offset1:176
	v_mov_b32_e32 v3, v7
	v_mov_b32_e32 v9, v13
	v_add_u32_e32 v4, 0x2800, v43
	v_mov_b32_e32 v21, v45
	ds_write2_b64 v4, v[2:3], v[8:9] offset0:40 offset1:160
	ds_write_b64 v43, v[20:21] offset:12480
.LBB0_14:
	s_or_b64 exec, exec, s[34:35]
	v_cmp_gt_u64_e32 vcc, s[14:15], v[24:25]
	s_or_b64 s[2:3], s[2:3], vcc
	s_waitcnt lgkmcnt(0)
	s_barrier
	s_and_saveexec_b64 s[14:15], s[2:3]
	s_cbranch_execz .LBB0_16
; %bb.15:
	v_lshrrev_b16_e32 v2, 2, v35
	v_and_b32_e32 v2, 63, v2
	v_mul_lo_u16_e32 v2, 49, v2
	v_lshrrev_b16_e32 v2, 10, v2
	v_mul_lo_u16_e32 v2, 0x54, v2
	s_load_dwordx2 s[0:1], s[0:1], 0x8
	v_sub_u16_e32 v2, v35, v2
	v_and_b32_e32 v30, 0xff, v2
	v_add_u32_e32 v2, 0x54, v30
	v_mul_lo_u32 v2, v24, v2
	v_mov_b32_e32 v3, 3
	v_lshlrev_b32_sdwa v4, v3, v2 dst_sel:DWORD dst_unused:UNUSED_PAD src0_sel:DWORD src1_sel:BYTE_0
	v_mul_lo_u32 v5, v24, v30
	v_lshlrev_b32_sdwa v2, v3, v2 dst_sel:DWORD dst_unused:UNUSED_PAD src0_sel:DWORD src1_sel:BYTE_1
	v_lshlrev_b32_sdwa v6, v3, v5 dst_sel:DWORD dst_unused:UNUSED_PAD src0_sel:DWORD src1_sel:BYTE_0
	v_lshlrev_b32_sdwa v5, v3, v5 dst_sel:DWORD dst_unused:UNUSED_PAD src0_sel:DWORD src1_sel:BYTE_1
	s_waitcnt lgkmcnt(0)
	global_load_dwordx2 v[8:9], v4, s[0:1]
	global_load_dwordx2 v[12:13], v2, s[0:1] offset:2048
	global_load_dwordx2 v[14:15], v6, s[0:1]
	global_load_dwordx2 v[16:17], v5, s[0:1] offset:2048
	s_movk_i32 s2, 0x118
	v_subrev_u32_e32 v2, 28, v1
	v_cmp_gt_u32_e32 vcc, s2, v0
	s_movk_i32 s2, 0x1a4
	s_nop 0
	v_cndmask_b32_e32 v2, v2, v36, vcc
	v_add_u32_e32 v4, 0x54, v2
	v_mul_lo_u32 v4, v24, v4
	v_lshlrev_b32_sdwa v5, v3, v4 dst_sel:DWORD dst_unused:UNUSED_PAD src0_sel:DWORD src1_sel:BYTE_0
	v_lshlrev_b32_sdwa v4, v3, v4 dst_sel:DWORD dst_unused:UNUSED_PAD src0_sel:DWORD src1_sel:BYTE_1
	v_mul_lo_u32 v6, v24, v2
	v_lshlrev_b32_sdwa v7, v3, v6 dst_sel:DWORD dst_unused:UNUSED_PAD src0_sel:DWORD src1_sel:BYTE_0
	v_lshlrev_b32_sdwa v6, v3, v6 dst_sel:DWORD dst_unused:UNUSED_PAD src0_sel:DWORD src1_sel:BYTE_1
	global_load_dwordx2 v[18:19], v5, s[0:1]
	global_load_dwordx2 v[26:27], v4, s[0:1] offset:2048
	global_load_dwordx2 v[28:29], v7, s[0:1]
	global_load_dwordx2 v[32:33], v6, s[0:1] offset:2048
	v_subrev_u32_e32 v4, 42, v1
	v_cmp_gt_u32_e32 vcc, s2, v0
	s_movk_i32 s2, 0x230
	s_waitcnt vmcnt(0)
	v_mul_f32_e32 v81, v28, v33
	v_cndmask_b32_e32 v4, v4, v34, vcc
	v_add_u32_e32 v5, 0x54, v4
	v_mul_lo_u32 v5, v24, v5
	v_lshlrev_b32_sdwa v6, v3, v5 dst_sel:DWORD dst_unused:UNUSED_PAD src0_sel:DWORD src1_sel:BYTE_0
	v_mul_lo_u32 v7, v24, v4
	v_lshlrev_b32_sdwa v5, v3, v5 dst_sel:DWORD dst_unused:UNUSED_PAD src0_sel:DWORD src1_sel:BYTE_1
	v_lshlrev_b32_sdwa v10, v3, v7 dst_sel:DWORD dst_unused:UNUSED_PAD src0_sel:DWORD src1_sel:BYTE_0
	v_lshlrev_b32_sdwa v7, v3, v7 dst_sel:DWORD dst_unused:UNUSED_PAD src0_sel:DWORD src1_sel:BYTE_1
	global_load_dwordx2 v[44:45], v6, s[0:1]
	global_load_dwordx2 v[46:47], v5, s[0:1] offset:2048
	global_load_dwordx2 v[48:49], v10, s[0:1]
	global_load_dwordx2 v[50:51], v7, s[0:1] offset:2048
	v_subrev_u32_e32 v5, 56, v1
	v_cmp_gt_u32_e32 vcc, s2, v0
	s_movk_i32 s2, 0x2bc
	v_fmac_f32_e32 v81, v29, v32
	v_cndmask_b32_e32 v10, v5, v37, vcc
	v_add_u32_e32 v5, 0x54, v10
	v_mul_lo_u32 v5, v24, v5
	v_lshlrev_b32_sdwa v6, v3, v5 dst_sel:DWORD dst_unused:UNUSED_PAD src0_sel:DWORD src1_sel:BYTE_0
	v_lshlrev_b32_sdwa v5, v3, v5 dst_sel:DWORD dst_unused:UNUSED_PAD src0_sel:DWORD src1_sel:BYTE_1
	v_mul_lo_u32 v7, v24, v10
	v_lshlrev_b32_sdwa v11, v3, v7 dst_sel:DWORD dst_unused:UNUSED_PAD src0_sel:DWORD src1_sel:BYTE_0
	v_lshlrev_b32_sdwa v7, v3, v7 dst_sel:DWORD dst_unused:UNUSED_PAD src0_sel:DWORD src1_sel:BYTE_1
	global_load_dwordx2 v[52:53], v6, s[0:1]
	global_load_dwordx2 v[54:55], v5, s[0:1] offset:2048
	global_load_dwordx2 v[56:57], v11, s[0:1]
	global_load_dwordx2 v[58:59], v7, s[0:1] offset:2048
	v_add_u32_e32 v5, 0xffffffba, v1
	v_cmp_gt_u32_e32 vcc, s2, v0
	s_movk_i32 s2, 0x348
	s_waitcnt vmcnt(4)
	v_mul_f32_e32 v83, v48, v51
	v_cndmask_b32_e32 v20, v5, v38, vcc
	v_add_u32_e32 v5, 0x54, v20
	v_mul_lo_u32 v5, v24, v5
	v_lshlrev_b32_sdwa v6, v3, v5 dst_sel:DWORD dst_unused:UNUSED_PAD src0_sel:DWORD src1_sel:BYTE_0
	v_lshlrev_b32_sdwa v5, v3, v5 dst_sel:DWORD dst_unused:UNUSED_PAD src0_sel:DWORD src1_sel:BYTE_1
	v_mul_lo_u32 v7, v24, v20
	v_lshlrev_b32_sdwa v11, v3, v7 dst_sel:DWORD dst_unused:UNUSED_PAD src0_sel:DWORD src1_sel:BYTE_0
	v_lshlrev_b32_sdwa v7, v3, v7 dst_sel:DWORD dst_unused:UNUSED_PAD src0_sel:DWORD src1_sel:BYTE_1
	global_load_dwordx2 v[60:61], v6, s[0:1]
	global_load_dwordx2 v[62:63], v5, s[0:1] offset:2048
	global_load_dwordx2 v[64:65], v11, s[0:1]
	global_load_dwordx2 v[66:67], v7, s[0:1] offset:2048
	v_add_u32_e32 v5, 0xffffffac, v1
	v_cmp_gt_u32_e32 vcc, s2, v0
	v_fmac_f32_e32 v83, v49, v50
	s_waitcnt vmcnt(4)
	v_mul_f32_e32 v85, v56, v59
	v_cndmask_b32_e32 v68, v5, v1, vcc
	v_add_u32_e32 v1, 0x54, v68
	v_mul_lo_u32 v6, v24, v68
	v_mul_lo_u32 v1, v24, v1
	v_lshlrev_b32_sdwa v7, v3, v6 dst_sel:DWORD dst_unused:UNUSED_PAD src0_sel:DWORD src1_sel:BYTE_0
	v_lshlrev_b32_sdwa v5, v3, v1 dst_sel:DWORD dst_unused:UNUSED_PAD src0_sel:DWORD src1_sel:BYTE_0
	v_lshlrev_b32_sdwa v1, v3, v1 dst_sel:DWORD dst_unused:UNUSED_PAD src0_sel:DWORD src1_sel:BYTE_1
	v_lshlrev_b32_sdwa v3, v3, v6 dst_sel:DWORD dst_unused:UNUSED_PAD src0_sel:DWORD src1_sel:BYTE_1
	global_load_dwordx2 v[70:71], v7, s[0:1]
	global_load_dwordx2 v[72:73], v3, s[0:1] offset:2048
	global_load_dwordx2 v[74:75], v1, s[0:1] offset:2048
	global_load_dwordx2 v[76:77], v5, s[0:1]
	v_mov_b32_e32 v6, v13
	v_pk_mul_f32 v[24:25], v[8:9], v[12:13] op_sel:[1,0] op_sel_hi:[0,1]
	v_mov_b32_e32 v3, 0
	v_pk_mul_f32 v[6:7], v[8:9], v[6:7] op_sel:[1,0] op_sel_hi:[0,1]
	v_mov_b32_e32 v24, v25
	v_mov_b32_e32 v69, v3
	v_pk_fma_f32 v[6:7], v[8:9], v[12:13], v[6:7] neg_lo:[0,0,1] neg_hi:[0,0,1]
	v_pk_fma_f32 v[8:9], v[8:9], v[12:13], v[24:25] op_sel:[1,0,0] op_sel_hi:[0,1,1]
	v_lshl_add_u64 v[12:13], v[68:69], 3, s[12:13]
	global_load_dwordx2 v[78:79], v[12:13], off offset:656
	v_mul_f32_e32 v1, v15, v17
	v_fma_f32 v31, v14, v16, -v1
	v_mul_i32_i24_e32 v1, 0x50, v35
	v_add3_u32 v5, 0, v1, v39
	v_mul_f32_e32 v1, v29, v33
	v_mov_b32_e32 v21, v3
	v_fma_f32 v80, v28, v32, -v1
	v_mul_f32_e32 v1, v49, v51
	v_lshl_add_u64 v[28:29], v[20:21], 3, s[12:13]
	v_fma_f32 v82, v48, v50, -v1
	global_load_dwordx2 v[50:51], v[28:29], off offset:656
	v_mul_f32_e32 v69, v14, v17
	v_fmac_f32_e32 v69, v15, v16
	v_mov_b32_e32 v12, v27
	v_pk_mul_f32 v[14:15], v[18:19], v[26:27] op_sel:[1,0] op_sel_hi:[0,1]
	v_pk_mul_f32 v[12:13], v[18:19], v[12:13] op_sel:[1,0] op_sel_hi:[0,1]
	v_mov_b32_e32 v14, v15
	v_pk_fma_f32 v[12:13], v[18:19], v[26:27], v[12:13] neg_lo:[0,0,1] neg_hi:[0,0,1]
	v_pk_fma_f32 v[14:15], v[18:19], v[26:27], v[14:15] op_sel:[1,0,0] op_sel_hi:[0,1,1]
	v_mov_b32_e32 v16, v47
	v_pk_mul_f32 v[18:19], v[44:45], v[46:47] op_sel:[1,0] op_sel_hi:[0,1]
	v_mov_b32_e32 v24, v55
	v_pk_mul_f32 v[26:27], v[52:53], v[54:55] op_sel:[1,0] op_sel_hi:[0,1]
	v_pk_mul_f32 v[16:17], v[44:45], v[16:17] op_sel:[1,0] op_sel_hi:[0,1]
	v_mov_b32_e32 v18, v19
	v_pk_mul_f32 v[24:25], v[52:53], v[24:25] op_sel:[1,0] op_sel_hi:[0,1]
	v_mov_b32_e32 v26, v27
	v_pk_fma_f32 v[16:17], v[44:45], v[46:47], v[16:17] neg_lo:[0,0,1] neg_hi:[0,0,1]
	v_pk_fma_f32 v[18:19], v[44:45], v[46:47], v[18:19] op_sel:[1,0,0] op_sel_hi:[0,1,1]
	v_pk_fma_f32 v[24:25], v[52:53], v[54:55], v[24:25] neg_lo:[0,0,1] neg_hi:[0,0,1]
	v_pk_fma_f32 v[26:27], v[52:53], v[54:55], v[26:27] op_sel:[1,0,0] op_sel_hi:[0,1,1]
	v_mul_f32_e32 v1, v57, v59
	v_fma_f32 v84, v56, v58, -v1
	v_fmac_f32_e32 v85, v57, v58
	v_add_u32_e32 v1, 0x1800, v40
	v_mad_u64_u32 v[56:57], s[0:1], s4, v22, 0
	s_waitcnt vmcnt(8)
	v_pk_mul_f32 v[44:45], v[60:61], v[62:63] op_sel:[1,0] op_sel_hi:[0,1]
	v_mov_b32_e32 v44, v45
	v_pk_fma_f32 v[48:49], v[60:61], v[62:63], v[44:45] op_sel:[1,0,0] op_sel_hi:[0,1,1]
	ds_read2_b64 v[44:47], v1 offset0:72 offset1:212
	v_mov_b32_e32 v32, v63
	s_waitcnt vmcnt(6)
	v_mul_f32_e32 v1, v65, v67
	v_pk_mul_f32 v[32:33], v[60:61], v[32:33] op_sel:[1,0] op_sel_hi:[0,1]
	v_fma_f32 v86, v64, v66, -v1
	v_pk_fma_f32 v[32:33], v[60:61], v[62:63], v[32:33] neg_lo:[0,0,1] neg_hi:[0,0,1]
	v_mul_f32_e32 v87, v64, v67
	v_fmac_f32_e32 v87, v65, v66
	v_lshl_add_u64 v[64:65], v[2:3], 3, s[12:13]
	v_sub_u32_e32 v2, v36, v2
	s_waitcnt vmcnt(4)
	v_mul_f32_e32 v1, v71, v73
	s_waitcnt vmcnt(3)
	v_mov_b32_e32 v28, v75
	s_waitcnt vmcnt(2)
	v_pk_mul_f32 v[28:29], v[76:77], v[28:29] op_sel:[1,0] op_sel_hi:[0,1]
	v_pk_fma_f32 v[52:53], v[76:77], v[74:75], v[28:29] neg_lo:[0,0,1] neg_hi:[0,0,1]
	v_pk_mul_f32 v[28:29], v[76:77], v[74:75] op_sel:[1,0] op_sel_hi:[0,1]
	v_mov_b32_e32 v28, v29
	v_pk_fma_f32 v[54:55], v[76:77], v[74:75], v[28:29] op_sel:[1,0,0] op_sel_hi:[0,1,1]
	v_mov_b32_e32 v28, v57
	v_mad_u64_u32 v[58:59], s[0:1], s5, v22, v[28:29]
	s_movk_i32 s0, 0x347
	v_fma_f32 v21, v70, v72, -v1
	ds_read_b64 v[60:61], v42
	ds_read_b64 v[28:29], v41
	;; [unrolled: 1-line block ×4, first 2 shown]
	v_mov_b32_e32 v1, 0xa8
	v_cmp_lt_u32_e32 vcc, s0, v0
	v_mul_f32_e32 v11, v70, v73
	v_fmac_f32_e32 v11, v71, v72
	v_cndmask_b32_e32 v0, 0, v1, vcc
	v_add_u32_e32 v41, v68, v0
	s_waitcnt vmcnt(1) lgkmcnt(4)
	v_pk_mul_f32 v[0:1], v[78:79], v[44:45] op_sel:[0,1]
	v_mov_b32_e32 v57, v58
	v_pk_fma_f32 v[42:43], v[78:79], v[44:45], v[0:1] op_sel:[0,0,1] op_sel_hi:[1,1,0]
	v_pk_fma_f32 v[44:45], v[78:79], v[44:45], v[0:1] op_sel:[0,0,1] op_sel_hi:[1,0,0] neg_lo:[1,0,0] neg_hi:[1,0,0]
	ds_read_b64 v[0:1], v5
	v_mov_b32_e32 v43, v45
	s_waitcnt lgkmcnt(1)
	v_pk_add_f32 v[42:43], v[22:23], v[42:43] neg_lo:[0,1] neg_hi:[0,1]
	s_nop 0
	v_pk_mul_f32 v[44:45], v[42:43], v[54:55] op_sel_hi:[1,0]
	s_nop 0
	v_pk_fma_f32 v[54:55], v[42:43], v[52:53], v[44:45] op_sel:[0,0,1] op_sel_hi:[1,1,0]
	v_pk_fma_f32 v[44:45], v[42:43], v[52:53], v[44:45] op_sel:[0,0,1] op_sel_hi:[1,0,0] neg_lo:[0,0,1] neg_hi:[0,0,1]
	v_fma_f32 v55, v22, 2.0, -v42
	v_fma_f32 v44, v23, 2.0, -v43
	v_mad_u64_u32 v[42:43], s[0:1], s8, v41, 0
	v_mov_b32_e32 v22, v43
	v_mad_u64_u32 v[22:23], s[0:1], s9, v41, v[22:23]
	v_mov_b32_e32 v43, v22
	v_mul_f32_e32 v22, v55, v11
	v_mul_f32_e32 v52, v44, v11
	v_mov_b32_e32 v11, v3
	v_lshl_add_u64 v[58:59], v[10:11], 3, s[12:13]
	v_mul_i32_i24_e32 v11, 0x50, v34
	v_add3_u32 v11, 0, v11, v39
	ds_read_b64 v[66:67], v11
	v_lshlrev_b32_e32 v5, 3, v30
	v_fma_f32 v53, v44, v21, -v22
	global_load_dwordx2 v[22:23], v5, s[12:13] offset:656
	s_lshl_b64 s[0:1], s[6:7], 3
	global_load_dwordx2 v[58:59], v[58:59], off offset:656
	s_add_u32 s0, s10, s0
	s_addc_u32 s1, s11, s1
	v_lshl_add_u64 v[56:57], v[56:57], 3, s[0:1]
	v_fmac_f32_e32 v52, v55, v21
	v_lshl_add_u64 v[42:43], v[42:43], 3, v[56:57]
	v_add_u32_e32 v5, 0x54, v41
	global_store_dwordx2 v[42:43], v[52:53], off
	v_mad_u64_u32 v[52:53], s[0:1], s8, v5, 0
	v_mov_b32_e32 v42, v53
	v_mad_u64_u32 v[42:43], s[0:1], s9, v5, v[42:43]
	v_mov_b32_e32 v53, v42
	v_add_u32_e32 v5, 0x2a00, v40
	v_mov_b32_e32 v55, v45
	ds_read2_b64 v[42:45], v5 offset0:56 offset1:196
	v_mov_b32_e32 v5, v3
	v_lshl_add_u64 v[52:53], v[52:53], 3, v[56:57]
	global_store_dwordx2 v[52:53], v[54:55], off
	v_lshl_add_u64 v[52:53], v[4:5], 3, s[12:13]
	global_load_dwordx2 v[52:53], v[52:53], off offset:656
	v_sub_u32_e32 v3, v38, v20
	v_add_u32_e32 v3, v3, v38
	s_waitcnt vmcnt(5)
	v_pk_mul_f32 v[20:21], v[50:51], v[46:47] op_sel:[0,1]
	s_nop 0
	v_pk_fma_f32 v[38:39], v[50:51], v[46:47], v[20:21] op_sel:[0,0,1] op_sel_hi:[1,1,0]
	v_pk_fma_f32 v[20:21], v[50:51], v[46:47], v[20:21] op_sel:[0,0,1] op_sel_hi:[1,0,0] neg_lo:[1,0,0] neg_hi:[1,0,0]
	v_mad_u64_u32 v[46:47], s[0:1], s8, v3, 0
	v_mov_b32_e32 v20, v47
	v_mad_u64_u32 v[50:51], s[0:1], s9, v3, v[20:21]
	v_add_u32_e32 v3, 0x54, v3
	v_mov_b32_e32 v47, v50
	v_mad_u64_u32 v[50:51], s[0:1], s8, v3, 0
	v_mov_b32_e32 v20, v51
	v_mov_b32_e32 v39, v21
	v_mad_u64_u32 v[54:55], s[0:1], s9, v3, v[20:21]
	v_pk_add_f32 v[20:21], v[60:61], v[38:39] neg_lo:[0,1] neg_hi:[0,1]
	v_add_u32_e32 v3, 0x2000, v40
	v_pk_mul_f32 v[38:39], v[20:21], v[48:49] op_sel_hi:[1,0]
	v_fma_f32 v5, v60, 2.0, -v20
	v_pk_fma_f32 v[48:49], v[20:21], v[32:33], v[38:39] op_sel:[0,0,1] op_sel_hi:[1,1,0]
	v_pk_fma_f32 v[32:33], v[20:21], v[32:33], v[38:39] op_sel:[0,0,1] op_sel_hi:[1,0,0] neg_lo:[0,0,1] neg_hi:[0,0,1]
	ds_read2_b64 v[38:41], v3 offset0:96 offset1:236
	v_mov_b32_e32 v49, v33
	global_load_dwordx2 v[32:33], v[64:65], off offset:656
	v_fma_f32 v3, v61, 2.0, -v21
	v_mul_f32_e32 v11, v5, v87
	v_fma_f32 v21, v3, v86, -v11
	v_mul_f32_e32 v20, v3, v87
	v_sub_u32_e32 v3, v37, v10
	v_add_u32_e32 v3, v3, v37
	v_lshl_add_u64 v[46:47], v[46:47], 3, v[56:57]
	v_fmac_f32_e32 v20, v5, v86
	v_mad_u64_u32 v[10:11], s[0:1], s8, v3, 0
	global_store_dwordx2 v[46:47], v[20:21], off
	v_mov_b32_e32 v20, v11
	v_mad_u64_u32 v[20:21], s[0:1], s9, v3, v[20:21]
	v_add_u32_e32 v3, 0x54, v3
	v_mov_b32_e32 v11, v20
	v_mad_u64_u32 v[20:21], s[0:1], s8, v3, 0
	v_mov_b32_e32 v46, v21
	v_mov_b32_e32 v51, v54
	v_mad_u64_u32 v[46:47], s[0:1], s9, v3, v[46:47]
	v_lshl_add_u64 v[50:51], v[50:51], 3, v[56:57]
	v_mov_b32_e32 v21, v46
	global_store_dwordx2 v[50:51], v[48:49], off
	v_lshl_add_u64 v[10:11], v[10:11], 3, v[56:57]
	v_lshl_add_u64 v[20:21], v[20:21], 3, v[56:57]
	s_waitcnt vmcnt(6) lgkmcnt(0)
	v_pk_mul_f32 v[46:47], v[58:59], v[38:39] op_sel:[0,1]
	s_nop 0
	v_pk_fma_f32 v[48:49], v[58:59], v[38:39], v[46:47] op_sel:[0,0,1] op_sel_hi:[1,1,0]
	v_pk_fma_f32 v[38:39], v[58:59], v[38:39], v[46:47] op_sel:[0,0,1] op_sel_hi:[1,0,0] neg_lo:[1,0,0] neg_hi:[1,0,0]
	s_nop 0
	v_mov_b32_e32 v49, v39
	v_pk_add_f32 v[38:39], v[62:63], v[48:49] neg_lo:[0,1] neg_hi:[0,1]
	s_nop 0
	v_pk_mul_f32 v[26:27], v[38:39], v[26:27] op_sel_hi:[1,0]
	v_fma_f32 v5, v62, 2.0, -v38
	v_pk_fma_f32 v[46:47], v[38:39], v[24:25], v[26:27] op_sel:[0,0,1] op_sel_hi:[1,1,0]
	v_pk_fma_f32 v[24:25], v[38:39], v[24:25], v[26:27] op_sel:[0,0,1] op_sel_hi:[1,0,0] neg_lo:[0,0,1] neg_hi:[0,0,1]
	v_fma_f32 v3, v63, 2.0, -v39
	v_mul_f32_e32 v24, v5, v85
	v_fma_f32 v27, v3, v84, -v24
	v_mul_f32_e32 v26, v3, v85
	v_sub_u32_e32 v3, v34, v4
	v_add_u32_e32 v3, v3, v34
	v_fmac_f32_e32 v26, v5, v84
	v_mad_u64_u32 v[4:5], s[0:1], s8, v3, 0
	global_store_dwordx2 v[10:11], v[26:27], off
	v_mov_b32_e32 v10, v5
	v_mad_u64_u32 v[10:11], s[0:1], s9, v3, v[10:11]
	v_add_u32_e32 v3, 0x54, v3
	v_mov_b32_e32 v47, v25
	v_mov_b32_e32 v5, v10
	v_mad_u64_u32 v[10:11], s[0:1], s8, v3, 0
	global_store_dwordx2 v[20:21], v[46:47], off
	v_mov_b32_e32 v20, v11
	v_mad_u64_u32 v[20:21], s[0:1], s9, v3, v[20:21]
	v_mov_b32_e32 v11, v20
	s_waitcnt vmcnt(5)
	v_pk_mul_f32 v[20:21], v[52:53], v[40:41] op_sel:[0,1]
	v_lshl_add_u64 v[4:5], v[4:5], 3, v[56:57]
	v_pk_fma_f32 v[24:25], v[52:53], v[40:41], v[20:21] op_sel:[0,0,1] op_sel_hi:[1,1,0]
	v_pk_fma_f32 v[20:21], v[52:53], v[40:41], v[20:21] op_sel:[0,0,1] op_sel_hi:[1,0,0] neg_lo:[1,0,0] neg_hi:[1,0,0]
	v_lshl_add_u64 v[10:11], v[10:11], 3, v[56:57]
	v_mov_b32_e32 v25, v21
	v_pk_add_f32 v[20:21], v[66:67], v[24:25] neg_lo:[0,1] neg_hi:[0,1]
	s_nop 0
	v_pk_mul_f32 v[18:19], v[20:21], v[18:19] op_sel_hi:[1,0]
	v_fma_f32 v3, v67, 2.0, -v21
	v_pk_fma_f32 v[24:25], v[20:21], v[16:17], v[18:19] op_sel:[0,0,1] op_sel_hi:[1,1,0]
	v_pk_fma_f32 v[16:17], v[20:21], v[16:17], v[18:19] op_sel:[0,0,1] op_sel_hi:[1,0,0] neg_lo:[0,0,1] neg_hi:[0,0,1]
	s_nop 0
	v_fma_f32 v16, v66, 2.0, -v20
	v_mul_f32_e32 v18, v16, v83
	v_fma_f32 v19, v3, v82, -v18
	v_mul_f32_e32 v18, v3, v83
	v_fmac_f32_e32 v18, v16, v82
	v_mov_b32_e32 v25, v17
	global_store_dwordx2 v[4:5], v[18:19], off
	global_store_dwordx2 v[10:11], v[24:25], off
	v_add_u32_e32 v10, v2, v36
	v_mad_u64_u32 v[2:3], s[0:1], s8, v10, 0
	v_mov_b32_e32 v4, v3
	v_mad_u64_u32 v[4:5], s[0:1], s9, v10, v[4:5]
	v_add_u32_e32 v11, 0x54, v10
	v_mov_b32_e32 v3, v4
	v_mad_u64_u32 v[4:5], s[0:1], s8, v11, 0
	v_mov_b32_e32 v10, v5
	v_mad_u64_u32 v[10:11], s[0:1], s9, v11, v[10:11]
	v_mov_b32_e32 v5, v10
	s_waitcnt vmcnt(6)
	v_pk_mul_f32 v[10:11], v[32:33], v[42:43] op_sel:[0,1]
	v_lshl_add_u64 v[2:3], v[2:3], 3, v[56:57]
	v_pk_fma_f32 v[16:17], v[32:33], v[42:43], v[10:11] op_sel:[0,0,1] op_sel_hi:[1,1,0]
	v_pk_fma_f32 v[10:11], v[32:33], v[42:43], v[10:11] op_sel:[0,0,1] op_sel_hi:[1,0,0] neg_lo:[1,0,0] neg_hi:[1,0,0]
	v_lshl_add_u64 v[4:5], v[4:5], 3, v[56:57]
	v_mov_b32_e32 v17, v11
	v_pk_add_f32 v[10:11], v[28:29], v[16:17] neg_lo:[0,1] neg_hi:[0,1]
	s_nop 0
	v_pk_mul_f32 v[14:15], v[10:11], v[14:15] op_sel_hi:[1,0]
	s_nop 0
	v_pk_fma_f32 v[16:17], v[10:11], v[12:13], v[14:15] op_sel:[0,0,1] op_sel_hi:[1,1,0]
	v_pk_fma_f32 v[12:13], v[10:11], v[12:13], v[14:15] op_sel:[0,0,1] op_sel_hi:[1,0,0] neg_lo:[0,0,1] neg_hi:[0,0,1]
	v_fma_f32 v14, v28, 2.0, -v10
	v_fma_f32 v12, v29, 2.0, -v11
	v_mul_f32_e32 v10, v14, v81
	v_fma_f32 v11, v12, v80, -v10
	v_mul_f32_e32 v10, v12, v81
	v_fmac_f32_e32 v10, v14, v80
	global_store_dwordx2 v[2:3], v[10:11], off
	v_sub_u32_e32 v2, v35, v30
	v_add_u32_e32 v10, v2, v35
	v_mov_b32_e32 v17, v13
	v_mad_u64_u32 v[2:3], s[0:1], s8, v10, 0
	global_store_dwordx2 v[4:5], v[16:17], off
	v_mov_b32_e32 v4, v3
	v_mad_u64_u32 v[4:5], s[0:1], s9, v10, v[4:5]
	v_add_u32_e32 v11, 0x54, v10
	v_mov_b32_e32 v3, v4
	v_mad_u64_u32 v[4:5], s[0:1], s8, v11, 0
	v_mov_b32_e32 v10, v5
	v_mad_u64_u32 v[10:11], s[0:1], s9, v11, v[10:11]
	v_mov_b32_e32 v5, v10
	v_pk_mul_f32 v[10:11], v[44:45], v[22:23] op_sel:[0,1]
	v_lshl_add_u64 v[2:3], v[2:3], 3, v[56:57]
	v_pk_fma_f32 v[12:13], v[44:45], v[22:23], v[10:11] op_sel:[0,0,1] op_sel_hi:[1,1,0]
	v_pk_fma_f32 v[10:11], v[44:45], v[22:23], v[10:11] op_sel:[0,0,1] op_sel_hi:[1,0,0] neg_lo:[0,0,1] neg_hi:[0,0,1]
	v_lshl_add_u64 v[4:5], v[4:5], 3, v[56:57]
	v_mov_b32_e32 v13, v11
	v_pk_add_f32 v[10:11], v[0:1], v[12:13] neg_lo:[0,1] neg_hi:[0,1]
	s_nop 0
	v_pk_mul_f32 v[8:9], v[10:11], v[8:9] op_sel_hi:[1,0]
	s_nop 0
	v_pk_fma_f32 v[12:13], v[10:11], v[6:7], v[8:9] op_sel:[0,0,1] op_sel_hi:[1,1,0]
	v_pk_fma_f32 v[6:7], v[10:11], v[6:7], v[8:9] op_sel:[0,0,1] op_sel_hi:[1,0,0] neg_lo:[0,0,1] neg_hi:[0,0,1]
	v_fma_f32 v8, v0, 2.0, -v10
	v_fma_f32 v6, v1, 2.0, -v11
	v_mul_f32_e32 v0, v8, v69
	v_fma_f32 v1, v6, v31, -v0
	v_mul_f32_e32 v0, v6, v69
	v_fmac_f32_e32 v0, v8, v31
	v_mov_b32_e32 v13, v7
	global_store_dwordx2 v[2:3], v[0:1], off
	global_store_dwordx2 v[4:5], v[12:13], off
.LBB0_16:
	s_endpgm
	.section	.rodata,"a",@progbits
	.p2align	6, 0x0
	.amdhsa_kernel fft_rtc_back_len168_factors_2_6_7_2_wgs_140_tpt_14_dim2_sp_ip_CI_sbcc_twdbase8_2step_dirReg
		.amdhsa_group_segment_fixed_size 0
		.amdhsa_private_segment_fixed_size 0
		.amdhsa_kernarg_size 88
		.amdhsa_user_sgpr_count 2
		.amdhsa_user_sgpr_dispatch_ptr 0
		.amdhsa_user_sgpr_queue_ptr 0
		.amdhsa_user_sgpr_kernarg_segment_ptr 1
		.amdhsa_user_sgpr_dispatch_id 0
		.amdhsa_user_sgpr_kernarg_preload_length 0
		.amdhsa_user_sgpr_kernarg_preload_offset 0
		.amdhsa_user_sgpr_private_segment_size 0
		.amdhsa_uses_dynamic_stack 0
		.amdhsa_enable_private_segment 0
		.amdhsa_system_sgpr_workgroup_id_x 1
		.amdhsa_system_sgpr_workgroup_id_y 0
		.amdhsa_system_sgpr_workgroup_id_z 0
		.amdhsa_system_sgpr_workgroup_info 0
		.amdhsa_system_vgpr_workitem_id 0
		.amdhsa_next_free_vgpr 88
		.amdhsa_next_free_sgpr 36
		.amdhsa_accum_offset 88
		.amdhsa_reserve_vcc 1
		.amdhsa_float_round_mode_32 0
		.amdhsa_float_round_mode_16_64 0
		.amdhsa_float_denorm_mode_32 3
		.amdhsa_float_denorm_mode_16_64 3
		.amdhsa_dx10_clamp 1
		.amdhsa_ieee_mode 1
		.amdhsa_fp16_overflow 0
		.amdhsa_tg_split 0
		.amdhsa_exception_fp_ieee_invalid_op 0
		.amdhsa_exception_fp_denorm_src 0
		.amdhsa_exception_fp_ieee_div_zero 0
		.amdhsa_exception_fp_ieee_overflow 0
		.amdhsa_exception_fp_ieee_underflow 0
		.amdhsa_exception_fp_ieee_inexact 0
		.amdhsa_exception_int_div_zero 0
	.end_amdhsa_kernel
	.text
.Lfunc_end0:
	.size	fft_rtc_back_len168_factors_2_6_7_2_wgs_140_tpt_14_dim2_sp_ip_CI_sbcc_twdbase8_2step_dirReg, .Lfunc_end0-fft_rtc_back_len168_factors_2_6_7_2_wgs_140_tpt_14_dim2_sp_ip_CI_sbcc_twdbase8_2step_dirReg
                                        ; -- End function
	.section	.AMDGPU.csdata,"",@progbits
; Kernel info:
; codeLenInByte = 8092
; NumSgprs: 42
; NumVgprs: 88
; NumAgprs: 0
; TotalNumVgprs: 88
; ScratchSize: 0
; MemoryBound: 0
; FloatMode: 240
; IeeeMode: 1
; LDSByteSize: 0 bytes/workgroup (compile time only)
; SGPRBlocks: 5
; VGPRBlocks: 10
; NumSGPRsForWavesPerEU: 42
; NumVGPRsForWavesPerEU: 88
; AccumOffset: 88
; Occupancy: 5
; WaveLimiterHint : 1
; COMPUTE_PGM_RSRC2:SCRATCH_EN: 0
; COMPUTE_PGM_RSRC2:USER_SGPR: 2
; COMPUTE_PGM_RSRC2:TRAP_HANDLER: 0
; COMPUTE_PGM_RSRC2:TGID_X_EN: 1
; COMPUTE_PGM_RSRC2:TGID_Y_EN: 0
; COMPUTE_PGM_RSRC2:TGID_Z_EN: 0
; COMPUTE_PGM_RSRC2:TIDIG_COMP_CNT: 0
; COMPUTE_PGM_RSRC3_GFX90A:ACCUM_OFFSET: 21
; COMPUTE_PGM_RSRC3_GFX90A:TG_SPLIT: 0
	.text
	.p2alignl 6, 3212836864
	.fill 256, 4, 3212836864
	.type	__hip_cuid_49e9f94c0ed3f272,@object ; @__hip_cuid_49e9f94c0ed3f272
	.section	.bss,"aw",@nobits
	.globl	__hip_cuid_49e9f94c0ed3f272
__hip_cuid_49e9f94c0ed3f272:
	.byte	0                               ; 0x0
	.size	__hip_cuid_49e9f94c0ed3f272, 1

	.ident	"AMD clang version 19.0.0git (https://github.com/RadeonOpenCompute/llvm-project roc-6.4.0 25133 c7fe45cf4b819c5991fe208aaa96edf142730f1d)"
	.section	".note.GNU-stack","",@progbits
	.addrsig
	.addrsig_sym __hip_cuid_49e9f94c0ed3f272
	.amdgpu_metadata
---
amdhsa.kernels:
  - .agpr_count:     0
    .args:
      - .actual_access:  read_only
        .address_space:  global
        .offset:         0
        .size:           8
        .value_kind:     global_buffer
      - .address_space:  global
        .offset:         8
        .size:           8
        .value_kind:     global_buffer
      - .actual_access:  read_only
        .address_space:  global
        .offset:         16
        .size:           8
        .value_kind:     global_buffer
      - .actual_access:  read_only
        .address_space:  global
        .offset:         24
        .size:           8
        .value_kind:     global_buffer
      - .offset:         32
        .size:           8
        .value_kind:     by_value
      - .actual_access:  read_only
        .address_space:  global
        .offset:         40
        .size:           8
        .value_kind:     global_buffer
      - .actual_access:  read_only
        .address_space:  global
        .offset:         48
        .size:           8
        .value_kind:     global_buffer
      - .offset:         56
        .size:           4
        .value_kind:     by_value
      - .actual_access:  read_only
        .address_space:  global
        .offset:         64
        .size:           8
        .value_kind:     global_buffer
      - .actual_access:  read_only
        .address_space:  global
        .offset:         72
        .size:           8
        .value_kind:     global_buffer
      - .address_space:  global
        .offset:         80
        .size:           8
        .value_kind:     global_buffer
    .group_segment_fixed_size: 0
    .kernarg_segment_align: 8
    .kernarg_segment_size: 88
    .language:       OpenCL C
    .language_version:
      - 2
      - 0
    .max_flat_workgroup_size: 140
    .name:           fft_rtc_back_len168_factors_2_6_7_2_wgs_140_tpt_14_dim2_sp_ip_CI_sbcc_twdbase8_2step_dirReg
    .private_segment_fixed_size: 0
    .sgpr_count:     42
    .sgpr_spill_count: 0
    .symbol:         fft_rtc_back_len168_factors_2_6_7_2_wgs_140_tpt_14_dim2_sp_ip_CI_sbcc_twdbase8_2step_dirReg.kd
    .uniform_work_group_size: 1
    .uses_dynamic_stack: false
    .vgpr_count:     88
    .vgpr_spill_count: 0
    .wavefront_size: 64
amdhsa.target:   amdgcn-amd-amdhsa--gfx950
amdhsa.version:
  - 1
  - 2
...

	.end_amdgpu_metadata
